;; amdgpu-corpus repo=ROCm/rocFFT kind=compiled arch=gfx1030 opt=O3
	.text
	.amdgcn_target "amdgcn-amd-amdhsa--gfx1030"
	.amdhsa_code_object_version 6
	.protected	fft_rtc_back_len495_factors_11_9_5_wgs_55_tpt_55_sp_op_CI_CI_unitstride_sbrr_dirReg ; -- Begin function fft_rtc_back_len495_factors_11_9_5_wgs_55_tpt_55_sp_op_CI_CI_unitstride_sbrr_dirReg
	.globl	fft_rtc_back_len495_factors_11_9_5_wgs_55_tpt_55_sp_op_CI_CI_unitstride_sbrr_dirReg
	.p2align	8
	.type	fft_rtc_back_len495_factors_11_9_5_wgs_55_tpt_55_sp_op_CI_CI_unitstride_sbrr_dirReg,@function
fft_rtc_back_len495_factors_11_9_5_wgs_55_tpt_55_sp_op_CI_CI_unitstride_sbrr_dirReg: ; @fft_rtc_back_len495_factors_11_9_5_wgs_55_tpt_55_sp_op_CI_CI_unitstride_sbrr_dirReg
; %bb.0:
	s_clause 0x2
	s_load_dwordx4 s[12:15], s[4:5], 0x0
	s_load_dwordx4 s[8:11], s[4:5], 0x58
	;; [unrolled: 1-line block ×3, first 2 shown]
	v_mul_u32_u24_e32 v1, 0x4a8, v0
	v_mov_b32_e32 v3, 0
	v_add_nc_u32_sdwa v5, s6, v1 dst_sel:DWORD dst_unused:UNUSED_PAD src0_sel:DWORD src1_sel:WORD_1
	v_mov_b32_e32 v1, 0
	v_mov_b32_e32 v6, v3
	v_mov_b32_e32 v2, 0
	s_waitcnt lgkmcnt(0)
	v_cmp_lt_u64_e64 s0, s[14:15], 2
	s_and_b32 vcc_lo, exec_lo, s0
	s_cbranch_vccnz .LBB0_8
; %bb.1:
	s_load_dwordx2 s[0:1], s[4:5], 0x10
	v_mov_b32_e32 v1, 0
	v_mov_b32_e32 v2, 0
	s_add_u32 s2, s18, 8
	s_addc_u32 s3, s19, 0
	s_add_u32 s6, s16, 8
	s_addc_u32 s7, s17, 0
	v_mov_b32_e32 v21, v2
	v_mov_b32_e32 v20, v1
	s_mov_b64 s[22:23], 1
	s_waitcnt lgkmcnt(0)
	s_add_u32 s20, s0, 8
	s_addc_u32 s21, s1, 0
.LBB0_2:                                ; =>This Inner Loop Header: Depth=1
	s_load_dwordx2 s[24:25], s[20:21], 0x0
                                        ; implicit-def: $vgpr22_vgpr23
	s_mov_b32 s0, exec_lo
	s_waitcnt lgkmcnt(0)
	v_or_b32_e32 v4, s25, v6
	v_cmpx_ne_u64_e32 0, v[3:4]
	s_xor_b32 s1, exec_lo, s0
	s_cbranch_execz .LBB0_4
; %bb.3:                                ;   in Loop: Header=BB0_2 Depth=1
	v_cvt_f32_u32_e32 v4, s24
	v_cvt_f32_u32_e32 v7, s25
	s_sub_u32 s0, 0, s24
	s_subb_u32 s26, 0, s25
	v_fmac_f32_e32 v4, 0x4f800000, v7
	v_rcp_f32_e32 v4, v4
	v_mul_f32_e32 v4, 0x5f7ffffc, v4
	v_mul_f32_e32 v7, 0x2f800000, v4
	v_trunc_f32_e32 v7, v7
	v_fmac_f32_e32 v4, 0xcf800000, v7
	v_cvt_u32_f32_e32 v7, v7
	v_cvt_u32_f32_e32 v4, v4
	v_mul_lo_u32 v8, s0, v7
	v_mul_hi_u32 v9, s0, v4
	v_mul_lo_u32 v10, s26, v4
	v_add_nc_u32_e32 v8, v9, v8
	v_mul_lo_u32 v9, s0, v4
	v_add_nc_u32_e32 v8, v8, v10
	v_mul_hi_u32 v10, v4, v9
	v_mul_lo_u32 v11, v4, v8
	v_mul_hi_u32 v12, v4, v8
	v_mul_hi_u32 v13, v7, v9
	v_mul_lo_u32 v9, v7, v9
	v_mul_hi_u32 v14, v7, v8
	v_mul_lo_u32 v8, v7, v8
	v_add_co_u32 v10, vcc_lo, v10, v11
	v_add_co_ci_u32_e32 v11, vcc_lo, 0, v12, vcc_lo
	v_add_co_u32 v9, vcc_lo, v10, v9
	v_add_co_ci_u32_e32 v9, vcc_lo, v11, v13, vcc_lo
	v_add_co_ci_u32_e32 v10, vcc_lo, 0, v14, vcc_lo
	v_add_co_u32 v8, vcc_lo, v9, v8
	v_add_co_ci_u32_e32 v9, vcc_lo, 0, v10, vcc_lo
	v_add_co_u32 v4, vcc_lo, v4, v8
	v_add_co_ci_u32_e32 v7, vcc_lo, v7, v9, vcc_lo
	v_mul_hi_u32 v8, s0, v4
	v_mul_lo_u32 v10, s26, v4
	v_mul_lo_u32 v9, s0, v7
	v_add_nc_u32_e32 v8, v8, v9
	v_mul_lo_u32 v9, s0, v4
	v_add_nc_u32_e32 v8, v8, v10
	v_mul_hi_u32 v10, v4, v9
	v_mul_lo_u32 v11, v4, v8
	v_mul_hi_u32 v12, v4, v8
	v_mul_hi_u32 v13, v7, v9
	v_mul_lo_u32 v9, v7, v9
	v_mul_hi_u32 v14, v7, v8
	v_mul_lo_u32 v8, v7, v8
	v_add_co_u32 v10, vcc_lo, v10, v11
	v_add_co_ci_u32_e32 v11, vcc_lo, 0, v12, vcc_lo
	v_add_co_u32 v9, vcc_lo, v10, v9
	v_add_co_ci_u32_e32 v9, vcc_lo, v11, v13, vcc_lo
	v_add_co_ci_u32_e32 v10, vcc_lo, 0, v14, vcc_lo
	v_add_co_u32 v8, vcc_lo, v9, v8
	v_add_co_ci_u32_e32 v9, vcc_lo, 0, v10, vcc_lo
	v_add_co_u32 v4, vcc_lo, v4, v8
	v_add_co_ci_u32_e32 v11, vcc_lo, v7, v9, vcc_lo
	v_mul_hi_u32 v13, v5, v4
	v_mad_u64_u32 v[9:10], null, v6, v4, 0
	v_mad_u64_u32 v[7:8], null, v5, v11, 0
	;; [unrolled: 1-line block ×3, first 2 shown]
	v_add_co_u32 v4, vcc_lo, v13, v7
	v_add_co_ci_u32_e32 v7, vcc_lo, 0, v8, vcc_lo
	v_add_co_u32 v4, vcc_lo, v4, v9
	v_add_co_ci_u32_e32 v4, vcc_lo, v7, v10, vcc_lo
	v_add_co_ci_u32_e32 v7, vcc_lo, 0, v12, vcc_lo
	v_add_co_u32 v4, vcc_lo, v4, v11
	v_add_co_ci_u32_e32 v9, vcc_lo, 0, v7, vcc_lo
	v_mul_lo_u32 v10, s25, v4
	v_mad_u64_u32 v[7:8], null, s24, v4, 0
	v_mul_lo_u32 v11, s24, v9
	v_sub_co_u32 v7, vcc_lo, v5, v7
	v_add3_u32 v8, v8, v11, v10
	v_sub_nc_u32_e32 v10, v6, v8
	v_subrev_co_ci_u32_e64 v10, s0, s25, v10, vcc_lo
	v_add_co_u32 v11, s0, v4, 2
	v_add_co_ci_u32_e64 v12, s0, 0, v9, s0
	v_sub_co_u32 v13, s0, v7, s24
	v_sub_co_ci_u32_e32 v8, vcc_lo, v6, v8, vcc_lo
	v_subrev_co_ci_u32_e64 v10, s0, 0, v10, s0
	v_cmp_le_u32_e32 vcc_lo, s24, v13
	v_cmp_eq_u32_e64 s0, s25, v8
	v_cndmask_b32_e64 v13, 0, -1, vcc_lo
	v_cmp_le_u32_e32 vcc_lo, s25, v10
	v_cndmask_b32_e64 v14, 0, -1, vcc_lo
	v_cmp_le_u32_e32 vcc_lo, s24, v7
	;; [unrolled: 2-line block ×3, first 2 shown]
	v_cndmask_b32_e64 v15, 0, -1, vcc_lo
	v_cmp_eq_u32_e32 vcc_lo, s25, v10
	v_cndmask_b32_e64 v7, v15, v7, s0
	v_cndmask_b32_e32 v10, v14, v13, vcc_lo
	v_add_co_u32 v13, vcc_lo, v4, 1
	v_add_co_ci_u32_e32 v14, vcc_lo, 0, v9, vcc_lo
	v_cmp_ne_u32_e32 vcc_lo, 0, v10
	v_cndmask_b32_e32 v8, v14, v12, vcc_lo
	v_cndmask_b32_e32 v10, v13, v11, vcc_lo
	v_cmp_ne_u32_e32 vcc_lo, 0, v7
	v_cndmask_b32_e32 v23, v9, v8, vcc_lo
	v_cndmask_b32_e32 v22, v4, v10, vcc_lo
.LBB0_4:                                ;   in Loop: Header=BB0_2 Depth=1
	s_andn2_saveexec_b32 s0, s1
	s_cbranch_execz .LBB0_6
; %bb.5:                                ;   in Loop: Header=BB0_2 Depth=1
	v_cvt_f32_u32_e32 v4, s24
	s_sub_i32 s1, 0, s24
	v_mov_b32_e32 v23, v3
	v_rcp_iflag_f32_e32 v4, v4
	v_mul_f32_e32 v4, 0x4f7ffffe, v4
	v_cvt_u32_f32_e32 v4, v4
	v_mul_lo_u32 v7, s1, v4
	v_mul_hi_u32 v7, v4, v7
	v_add_nc_u32_e32 v4, v4, v7
	v_mul_hi_u32 v4, v5, v4
	v_mul_lo_u32 v7, v4, s24
	v_add_nc_u32_e32 v8, 1, v4
	v_sub_nc_u32_e32 v7, v5, v7
	v_subrev_nc_u32_e32 v9, s24, v7
	v_cmp_le_u32_e32 vcc_lo, s24, v7
	v_cndmask_b32_e32 v7, v7, v9, vcc_lo
	v_cndmask_b32_e32 v4, v4, v8, vcc_lo
	v_cmp_le_u32_e32 vcc_lo, s24, v7
	v_add_nc_u32_e32 v8, 1, v4
	v_cndmask_b32_e32 v22, v4, v8, vcc_lo
.LBB0_6:                                ;   in Loop: Header=BB0_2 Depth=1
	s_or_b32 exec_lo, exec_lo, s0
	v_mul_lo_u32 v4, v23, s24
	v_mul_lo_u32 v9, v22, s25
	s_load_dwordx2 s[0:1], s[6:7], 0x0
	v_mad_u64_u32 v[7:8], null, v22, s24, 0
	s_load_dwordx2 s[24:25], s[2:3], 0x0
	s_add_u32 s22, s22, 1
	s_addc_u32 s23, s23, 0
	s_add_u32 s2, s2, 8
	s_addc_u32 s3, s3, 0
	s_add_u32 s6, s6, 8
	v_add3_u32 v4, v8, v9, v4
	v_sub_co_u32 v5, vcc_lo, v5, v7
	s_addc_u32 s7, s7, 0
	s_add_u32 s20, s20, 8
	v_sub_co_ci_u32_e32 v4, vcc_lo, v6, v4, vcc_lo
	s_addc_u32 s21, s21, 0
	s_waitcnt lgkmcnt(0)
	v_mul_lo_u32 v6, s0, v4
	v_mul_lo_u32 v7, s1, v5
	v_mad_u64_u32 v[1:2], null, s0, v5, v[1:2]
	v_mul_lo_u32 v4, s24, v4
	v_mul_lo_u32 v8, s25, v5
	v_mad_u64_u32 v[20:21], null, s24, v5, v[20:21]
	v_cmp_ge_u64_e64 s0, s[22:23], s[14:15]
	v_add3_u32 v2, v7, v2, v6
	v_add3_u32 v21, v8, v21, v4
	s_and_b32 vcc_lo, exec_lo, s0
	s_cbranch_vccnz .LBB0_9
; %bb.7:                                ;   in Loop: Header=BB0_2 Depth=1
	v_mov_b32_e32 v5, v22
	v_mov_b32_e32 v6, v23
	s_branch .LBB0_2
.LBB0_8:
	v_mov_b32_e32 v21, v2
	v_mov_b32_e32 v23, v6
	;; [unrolled: 1-line block ×4, first 2 shown]
.LBB0_9:
	s_load_dwordx2 s[0:1], s[4:5], 0x28
	v_mul_hi_u32 v3, 0x4a7904b, v0
	s_lshl_b64 s[4:5], s[14:15], 3
                                        ; implicit-def: $vgpr24
	s_add_u32 s2, s18, s4
	s_addc_u32 s3, s19, s5
	s_waitcnt lgkmcnt(0)
	v_cmp_gt_u64_e32 vcc_lo, s[0:1], v[22:23]
	v_cmp_le_u64_e64 s0, s[0:1], v[22:23]
	s_and_saveexec_b32 s1, s0
	s_xor_b32 s0, exec_lo, s1
; %bb.10:
	v_mul_u32_u24_e32 v1, 55, v3
                                        ; implicit-def: $vgpr3
	v_sub_nc_u32_e32 v24, v0, v1
                                        ; implicit-def: $vgpr0
                                        ; implicit-def: $vgpr1_vgpr2
; %bb.11:
	s_andn2_saveexec_b32 s1, s0
	s_cbranch_execz .LBB0_13
; %bb.12:
	s_add_u32 s4, s16, s4
	s_addc_u32 s5, s17, s5
	v_lshlrev_b64 v[1:2], 3, v[1:2]
	s_load_dwordx2 s[4:5], s[4:5], 0x0
	s_waitcnt lgkmcnt(0)
	v_mul_lo_u32 v6, s5, v22
	v_mul_lo_u32 v7, s4, v23
	v_mad_u64_u32 v[4:5], null, s4, v22, 0
	v_add3_u32 v5, v5, v7, v6
	v_mul_u32_u24_e32 v6, 55, v3
	v_lshlrev_b64 v[3:4], 3, v[4:5]
	v_sub_nc_u32_e32 v24, v0, v6
	v_lshlrev_b32_e32 v18, 3, v24
	v_add_co_u32 v0, s0, s8, v3
	v_add_co_ci_u32_e64 v3, s0, s9, v4, s0
	v_add_co_u32 v0, s0, v0, v1
	v_add_co_ci_u32_e64 v1, s0, v3, v2, s0
	;; [unrolled: 2-line block ×3, first 2 shown]
	v_add_nc_u32_e32 v18, 0, v18
	v_add_co_u32 v2, s0, 0x800, v0
	v_add_co_ci_u32_e64 v3, s0, 0, v1, s0
	s_clause 0x8
	global_load_dwordx2 v[4:5], v[0:1], off
	global_load_dwordx2 v[6:7], v[0:1], off offset:440
	global_load_dwordx2 v[8:9], v[0:1], off offset:880
	;; [unrolled: 1-line block ×8, first 2 shown]
	v_add_nc_u32_e32 v19, 0x400, v18
	v_add_nc_u32_e32 v25, 0x800, v18
	s_waitcnt vmcnt(7)
	ds_write2_b64 v18, v[4:5], v[6:7] offset1:55
	s_waitcnt vmcnt(5)
	ds_write2_b64 v18, v[8:9], v[10:11] offset0:110 offset1:165
	s_waitcnt vmcnt(3)
	ds_write2_b64 v19, v[0:1], v[12:13] offset0:92 offset1:147
	;; [unrolled: 2-line block ×3, first 2 shown]
	s_waitcnt vmcnt(0)
	ds_write_b64 v18, v[2:3] offset:3520
.LBB0_13:
	s_or_b32 exec_lo, exec_lo, s1
	v_lshl_add_u32 v29, v24, 3, 0
	s_waitcnt lgkmcnt(0)
	s_barrier
	buffer_gl0_inv
	s_mov_b32 s1, exec_lo
	ds_read2_b64 v[0:3], v29 offset1:45
	ds_read_b64 v[27:28], v29 offset:3600
	v_add_nc_u32_e32 v30, 0x800, v29
	ds_read2_b64 v[16:19], v29 offset0:90 offset1:135
	ds_read2_b64 v[4:7], v30 offset0:104 offset1:149
	;; [unrolled: 1-line block ×4, first 2 shown]
	s_waitcnt lgkmcnt(0)
	s_barrier
	buffer_gl0_inv
	v_sub_f32_e32 v41, v3, v28
	v_add_f32_e32 v49, v28, v3
	v_add_f32_e32 v31, v27, v2
	v_sub_f32_e32 v38, v2, v27
	v_add_f32_e32 v50, v7, v17
	v_mul_f32_e32 v51, 0xbf68dda4, v41
	v_mul_f32_e32 v52, 0x3ed4b147, v49
	v_sub_f32_e32 v43, v17, v7
	v_add_f32_e32 v32, v6, v16
	v_sub_f32_e32 v33, v16, v6
	v_add_f32_e32 v48, v5, v19
	v_sub_f32_e32 v45, v19, v5
	v_fma_f32 v25, 0x3ed4b147, v31, -v51
	v_fmamk_f32 v26, v38, 0xbf68dda4, v52
	v_mul_f32_e32 v58, 0xbf4178ce, v43
	v_mul_f32_e32 v60, 0xbf27a4f4, v50
	v_add_f32_e32 v34, v4, v18
	v_sub_f32_e32 v35, v18, v4
	v_add_f32_e32 v47, v11, v13
	v_sub_f32_e32 v46, v13, v11
	v_mul_f32_e32 v55, 0x3e903f40, v45
	v_mul_f32_e32 v59, 0xbf75a155, v48
	v_add_f32_e32 v25, v0, v25
	v_fma_f32 v40, 0xbf27a4f4, v32, -v58
	v_add_f32_e32 v26, v1, v26
	v_fmamk_f32 v53, v33, 0xbf4178ce, v60
	v_add_f32_e32 v36, v10, v12
	v_sub_f32_e32 v37, v12, v10
	v_add_f32_e32 v42, v9, v15
	v_sub_f32_e32 v44, v15, v9
	v_mul_f32_e32 v54, 0x3f7d64f0, v46
	v_mul_f32_e32 v57, 0xbe11bafb, v47
	v_fma_f32 v56, 0xbf75a155, v34, -v55
	v_add_f32_e32 v25, v40, v25
	v_fmamk_f32 v61, v35, 0x3e903f40, v59
	v_add_f32_e32 v26, v53, v26
	v_add_f32_e32 v39, v8, v14
	v_fma_f32 v62, 0xbe11bafb, v36, -v54
	v_fmamk_f32 v63, v37, 0x3f7d64f0, v57
	v_add_f32_e32 v25, v56, v25
	v_sub_f32_e32 v40, v14, v8
	v_mul_f32_e32 v53, 0x3f0a6770, v44
	v_mul_f32_e32 v56, 0x3f575c64, v42
	v_add_f32_e32 v26, v61, v26
	v_add_f32_e32 v25, v62, v25
	v_fma_f32 v61, 0x3f575c64, v39, -v53
	v_fmamk_f32 v62, v40, 0x3f0a6770, v56
	v_add_f32_e32 v26, v63, v26
	v_add_f32_e32 v25, v61, v25
	;; [unrolled: 1-line block ×3, first 2 shown]
	v_cmpx_gt_u32_e32 45, v24
	s_cbranch_execz .LBB0_15
; %bb.14:
	v_add_f32_e32 v2, v0, v2
	v_add_f32_e32 v3, v1, v3
	v_mul_f32_e32 v61, 0xbf75a155, v49
	v_mul_f32_e32 v62, 0x3f575c64, v50
	v_mul_f32_e32 v64, 0x3f0a6770, v43
	v_add_f32_e32 v2, v2, v16
	v_add_f32_e32 v3, v3, v17
	v_mul_f32_e32 v17, 0xbe903f40, v41
	v_mul_f32_e32 v63, 0xbf27a4f4, v48
	v_mul_f32_e32 v16, 0x3ed4b147, v47
	;; [unrolled: 5-line block ×3, first 2 shown]
	v_add_f32_e32 v2, v2, v12
	v_add_f32_e32 v3, v3, v13
	v_fmamk_f32 v12, v38, 0x3e903f40, v61
	v_fmamk_f32 v13, v33, 0xbf0a6770, v62
	;; [unrolled: 1-line block ×3, first 2 shown]
	v_add_f32_e32 v2, v2, v14
	v_add_f32_e32 v3, v3, v15
	v_fmamk_f32 v14, v31, 0xbf75a155, v17
	v_fmamk_f32 v15, v32, 0x3f575c64, v64
	v_mul_f32_e32 v68, 0x3f7d64f0, v43
	v_add_f32_e32 v2, v2, v8
	v_add_f32_e32 v3, v3, v9
	;; [unrolled: 1-line block ×4, first 2 shown]
	v_fmamk_f32 v8, v34, 0xbf27a4f4, v18
	v_add_f32_e32 v2, v2, v10
	v_add_f32_e32 v3, v3, v11
	;; [unrolled: 1-line block ×4, first 2 shown]
	v_fmamk_f32 v10, v37, 0xbf68dda4, v16
	v_add_f32_e32 v2, v2, v4
	v_add_f32_e32 v3, v3, v5
	v_fmamk_f32 v4, v36, 0x3ed4b147, v65
	v_add_f32_e32 v5, v67, v9
	v_add_f32_e32 v8, v8, v11
	;; [unrolled: 1-line block ×3, first 2 shown]
	v_fmamk_f32 v6, v38, 0x3f4178ce, v66
	v_mul_f32_e32 v15, 0xbe11bafb, v50
	v_mul_f32_e32 v67, 0xbf4178ce, v41
	v_add_f32_e32 v3, v3, v7
	v_add_f32_e32 v5, v10, v5
	;; [unrolled: 1-line block ×4, first 2 shown]
	v_fmamk_f32 v8, v33, 0xbf7d64f0, v15
	v_fmamk_f32 v10, v31, 0xbf27a4f4, v67
	v_add_f32_e32 v3, v3, v28
	v_mul_f32_e32 v28, 0xbf0a6770, v45
	v_mul_f32_e32 v19, 0xbe11bafb, v42
	v_add_f32_e32 v6, v8, v6
	v_add_f32_e32 v8, v0, v10
	v_fmamk_f32 v10, v32, 0xbe11bafb, v68
	v_mul_f32_e32 v14, 0xbf7d64f0, v44
	v_mul_f32_e32 v69, 0x3f575c64, v48
	;; [unrolled: 1-line block ×3, first 2 shown]
	v_fmamk_f32 v7, v40, 0x3f7d64f0, v19
	v_add_f32_e32 v8, v10, v8
	v_fmamk_f32 v10, v34, 0x3f575c64, v28
	v_fmamk_f32 v9, v39, 0xbe11bafb, v14
	v_add_f32_e32 v2, v2, v27
	v_fmamk_f32 v11, v35, 0x3f0a6770, v69
	v_mul_f32_e32 v27, 0xbf75a155, v47
	v_add_f32_e32 v8, v10, v8
	v_mul_f32_e32 v71, 0xbe11bafb, v49
	v_fmamk_f32 v10, v36, 0xbf75a155, v70
	v_mul_f32_e32 v75, 0xbf7d64f0, v41
	v_add_f32_e32 v5, v7, v5
	v_add_f32_e32 v6, v11, v6
	v_fmamk_f32 v7, v37, 0x3e903f40, v27
	v_add_f32_e32 v4, v9, v4
	v_fmamk_f32 v9, v38, 0x3f7d64f0, v71
	v_mul_f32_e32 v74, 0xbf75a155, v50
	v_add_f32_e32 v8, v10, v8
	v_fmamk_f32 v10, v31, 0xbe11bafb, v75
	v_mul_f32_e32 v77, 0x3e903f40, v43
	v_mul_f32_e32 v72, 0x3ed4b147, v42
	v_add_f32_e32 v6, v7, v6
	v_add_f32_e32 v7, v1, v9
	v_fmamk_f32 v9, v33, 0xbe903f40, v74
	v_mul_f32_e32 v76, 0x3ed4b147, v48
	v_add_f32_e32 v10, v0, v10
	v_fmamk_f32 v12, v32, 0xbf75a155, v77
	v_mul_f32_e32 v78, 0x3f68dda4, v45
	v_mul_f32_e32 v73, 0x3f68dda4, v44
	v_fmamk_f32 v11, v40, 0xbf68dda4, v72
	v_add_f32_e32 v7, v9, v7
	v_fmamk_f32 v9, v35, 0xbf68dda4, v76
	v_add_f32_e32 v10, v12, v10
	v_fmamk_f32 v12, v34, 0x3ed4b147, v78
	v_mul_f32_e32 v80, 0xbf0a6770, v46
	v_fmamk_f32 v13, v39, 0x3ed4b147, v73
	v_add_f32_e32 v9, v9, v7
	v_add_f32_e32 v7, v11, v6
	;; [unrolled: 1-line block ×3, first 2 shown]
	v_fmamk_f32 v11, v36, 0x3f575c64, v80
	v_mul_f32_e32 v12, 0xbf68dda4, v38
	v_add_f32_e32 v6, v13, v8
	v_mul_f32_e32 v13, 0x3e903f40, v35
	v_mul_f32_e32 v49, 0x3f575c64, v49
	v_add_f32_e32 v8, v11, v10
	v_mul_f32_e32 v10, 0xbf4178ce, v33
	v_sub_f32_e32 v11, v52, v12
	v_mul_f32_e32 v52, 0xbf4178ce, v44
	v_mul_f32_e32 v12, 0x3ed4b147, v31
	;; [unrolled: 1-line block ×3, first 2 shown]
	v_sub_f32_e32 v10, v60, v10
	v_add_f32_e32 v11, v1, v11
	v_mul_f32_e32 v60, 0xbf27a4f4, v32
	v_add_f32_e32 v12, v12, v51
	v_fmamk_f32 v51, v39, 0xbf27a4f4, v52
	v_mul_f32_e32 v41, 0xbf0a6770, v41
	v_add_f32_e32 v10, v10, v11
	v_sub_f32_e32 v11, v59, v13
	v_add_f32_e32 v13, v60, v58
	v_add_f32_e32 v8, v51, v8
	v_mul_f32_e32 v51, 0x3f7d64f0, v37
	v_add_f32_e32 v12, v0, v12
	v_mul_f32_e32 v58, 0xbf75a155, v34
	;; [unrolled: 2-line block ×3, first 2 shown]
	v_sub_f32_e32 v51, v57, v51
	v_add_f32_e32 v11, v13, v12
	v_add_f32_e32 v12, v58, v55
	v_mul_f32_e32 v13, 0xbe11bafb, v36
	v_mul_f32_e32 v55, 0x3f0a6770, v40
	v_add_f32_e32 v10, v51, v10
	v_fmamk_f32 v51, v38, 0x3f0a6770, v49
	v_add_f32_e32 v11, v12, v11
	v_add_f32_e32 v12, v13, v54
	v_sub_f32_e32 v13, v56, v55
	v_fmamk_f32 v54, v33, 0x3f68dda4, v50
	v_add_f32_e32 v51, v1, v51
	v_fmamk_f32 v55, v31, 0x3f575c64, v41
	v_mul_f32_e32 v43, 0xbf68dda4, v43
	v_add_f32_e32 v12, v12, v11
	v_mul_f32_e32 v11, 0x3f575c64, v39
	v_add_f32_e32 v51, v54, v51
	v_fmamk_f32 v54, v35, 0x3f7d64f0, v48
	v_add_f32_e32 v55, v0, v55
	v_fmamk_f32 v56, v32, 0x3ed4b147, v43
	v_mul_f32_e32 v45, 0xbf7d64f0, v45
	v_mul_f32_e32 v79, 0x3f575c64, v47
	v_add_f32_e32 v53, v11, v53
	v_add_f32_e32 v11, v13, v10
	v_mul_f32_e32 v47, 0xbf27a4f4, v47
	v_add_f32_e32 v13, v54, v51
	v_add_f32_e32 v51, v56, v55
	v_fmamk_f32 v54, v34, 0xbe11bafb, v45
	v_mul_f32_e32 v46, 0xbf4178ce, v46
	v_mul_f32_e32 v82, 0xbf27a4f4, v42
	v_fmamk_f32 v55, v37, 0x3f4178ce, v47
	v_add_f32_e32 v10, v53, v12
	v_fmac_f32_e32 v61, 0xbe903f40, v38
	v_add_f32_e32 v12, v54, v51
	v_fmamk_f32 v51, v36, 0xbf27a4f4, v46
	v_mul_f32_e32 v42, 0xbf75a155, v42
	v_add_f32_e32 v13, v55, v13
	v_add_f32_e32 v53, v1, v61
	v_fmac_f32_e32 v62, 0x3f0a6770, v33
	v_add_f32_e32 v12, v51, v12
	v_fma_f32 v17, 0xbf75a155, v31, -v17
	v_mul_f32_e32 v44, 0xbe903f40, v44
	v_fmamk_f32 v51, v40, 0x3e903f40, v42
	v_add_f32_e32 v53, v62, v53
	v_fmac_f32_e32 v63, 0xbf4178ce, v35
	v_add_f32_e32 v17, v0, v17
	v_fma_f32 v54, 0x3f575c64, v32, -v64
	v_add_f32_e32 v13, v51, v13
	v_fmamk_f32 v51, v39, 0xbf75a155, v44
	v_add_f32_e32 v53, v63, v53
	v_fmac_f32_e32 v16, 0x3f68dda4, v37
	v_add_f32_e32 v17, v54, v17
	v_fma_f32 v18, 0xbf27a4f4, v34, -v18
	v_fmac_f32_e32 v66, 0xbf4178ce, v38
	v_add_f32_e32 v12, v51, v12
	v_fma_f32 v51, 0xbf27a4f4, v31, -v67
	v_add_f32_e32 v16, v16, v53
	v_add_f32_e32 v17, v18, v17
	;; [unrolled: 1-line block ×3, first 2 shown]
	v_fmac_f32_e32 v15, 0x3f7d64f0, v33
	v_add_f32_e32 v51, v0, v51
	v_fma_f32 v53, 0xbe11bafb, v32, -v68
	v_fmac_f32_e32 v71, 0xbf7d64f0, v38
	v_fmac_f32_e32 v69, 0xbf0a6770, v35
	v_add_f32_e32 v15, v15, v18
	v_fma_f32 v28, 0x3f575c64, v34, -v28
	v_add_f32_e32 v18, v53, v51
	v_fmac_f32_e32 v19, 0xbf7d64f0, v40
	v_add_f32_e32 v51, v1, v71
	v_fmac_f32_e32 v74, 0x3e903f40, v33
	v_add_f32_e32 v53, v69, v15
	v_add_f32_e32 v18, v28, v18
	;; [unrolled: 1-line block ×3, first 2 shown]
	v_fma_f32 v16, 0xbf75a155, v36, -v70
	v_fma_f32 v54, 0x3ed4b147, v36, -v65
	v_add_f32_e32 v28, v74, v51
	v_fmac_f32_e32 v27, 0xbe903f40, v37
	v_fmac_f32_e32 v76, 0x3f68dda4, v35
	v_add_f32_e32 v16, v16, v18
	v_fma_f32 v18, 0x3ed4b147, v39, -v73
	v_fmamk_f32 v81, v37, 0x3f0a6770, v79
	v_add_f32_e32 v17, v54, v17
	v_fma_f32 v14, 0xbe11bafb, v39, -v14
	v_add_f32_e32 v19, v27, v53
	v_fmac_f32_e32 v72, 0x3f68dda4, v40
	v_add_f32_e32 v27, v76, v28
	v_fmac_f32_e32 v79, 0xbf0a6770, v37
	v_add_f32_e32 v16, v18, v16
	v_fma_f32 v18, 0xbe11bafb, v31, -v75
	v_add_f32_e32 v14, v14, v17
	v_add_f32_e32 v17, v72, v19
	;; [unrolled: 1-line block ×3, first 2 shown]
	v_fmac_f32_e32 v49, 0xbf0a6770, v38
	v_fma_f32 v27, 0x3f575c64, v31, -v41
	v_add_f32_e32 v18, v0, v18
	v_fma_f32 v28, 0xbf75a155, v32, -v77
	v_fmac_f32_e32 v50, 0xbf68dda4, v33
	v_add_f32_e32 v1, v1, v49
	v_add_f32_e32 v0, v0, v27
	v_fma_f32 v27, 0x3ed4b147, v32, -v43
	v_add_f32_e32 v18, v28, v18
	v_fma_f32 v28, 0x3ed4b147, v34, -v78
	v_add_f32_e32 v1, v50, v1
	v_fmac_f32_e32 v48, 0xbf7d64f0, v35
	v_add_f32_e32 v0, v27, v0
	v_fma_f32 v27, 0xbe11bafb, v34, -v45
	v_add_f32_e32 v18, v28, v18
	v_fma_f32 v28, 0x3f575c64, v36, -v80
	v_add_f32_e32 v1, v48, v1
	v_fmac_f32_e32 v47, 0xbf4178ce, v37
	v_add_f32_e32 v0, v27, v0
	v_fma_f32 v27, 0xbf27a4f4, v36, -v46
	v_add_f32_e32 v9, v81, v9
	v_fmamk_f32 v81, v40, 0x3f4178ce, v82
	v_fmac_f32_e32 v82, 0xbf4178ce, v40
	v_add_f32_e32 v18, v28, v18
	v_fma_f32 v28, 0xbf27a4f4, v39, -v52
	v_add_f32_e32 v31, v47, v1
	v_fmac_f32_e32 v42, 0xbe903f40, v40
	v_add_f32_e32 v27, v27, v0
	v_fma_f32 v32, 0xbf75a155, v39, -v44
	v_mad_u32_u24 v33, 0x50, v24, v29
	v_add_f32_e32 v9, v81, v9
	v_add_f32_e32 v1, v82, v19
	;; [unrolled: 1-line block ×5, first 2 shown]
	ds_write2_b64 v33, v[2:3], v[12:13] offset1:1
	ds_write2_b64 v33, v[10:11], v[8:9] offset0:2 offset1:3
	ds_write2_b64 v33, v[6:7], v[4:5] offset0:4 offset1:5
	;; [unrolled: 1-line block ×4, first 2 shown]
	ds_write_b64 v33, v[18:19] offset:80
.LBB0_15:
	s_or_b32 exec_lo, exec_lo, s1
	v_and_b32_e32 v0, 0xff, v24
	s_load_dwordx2 s[2:3], s[2:3], 0x0
	s_waitcnt lgkmcnt(0)
	s_barrier
	buffer_gl0_inv
	v_mul_lo_u16 v0, 0x75, v0
	v_add_nc_u32_e32 v27, 0x400, v29
	v_mov_b32_e32 v46, 0x318
	v_mov_b32_e32 v47, 3
	v_cmp_gt_u32_e64 s0, 44, v24
	v_lshrrev_b16 v0, 8, v0
	v_sub_nc_u16 v1, v24, v0
	v_lshrrev_b16 v1, 1, v1
	v_and_b32_e32 v1, 0x7f, v1
	v_add_nc_u16 v0, v1, v0
	v_mov_b32_e32 v1, 6
	v_lshrrev_b16 v28, 3, v0
	v_mul_lo_u16 v0, v28, 11
	v_mul_u32_u24_sdwa v28, v28, v46 dst_sel:DWORD dst_unused:UNUSED_PAD src0_sel:WORD_0 src1_sel:DWORD
	v_sub_nc_u16 v45, v24, v0
	v_lshlrev_b32_sdwa v12, v1, v45 dst_sel:DWORD dst_unused:UNUSED_PAD src0_sel:DWORD src1_sel:BYTE_0
	s_clause 0x3
	global_load_dwordx4 v[0:3], v12, s[12:13]
	global_load_dwordx4 v[4:7], v12, s[12:13] offset:16
	global_load_dwordx4 v[8:11], v12, s[12:13] offset:32
	;; [unrolled: 1-line block ×3, first 2 shown]
	ds_read2_b64 v[16:19], v29 offset1:55
	ds_read2_b64 v[31:34], v29 offset0:110 offset1:165
	ds_read2_b64 v[35:38], v27 offset0:92 offset1:147
	;; [unrolled: 1-line block ×3, first 2 shown]
	ds_read_b64 v[43:44], v29 offset:3520
	v_lshlrev_b32_sdwa v30, v47, v45 dst_sel:DWORD dst_unused:UNUSED_PAD src0_sel:DWORD src1_sel:BYTE_0
	s_waitcnt vmcnt(0) lgkmcnt(0)
	s_barrier
	buffer_gl0_inv
	v_add3_u32 v28, 0, v28, v30
	v_mul_f32_e32 v30, v1, v19
	v_mul_f32_e32 v1, v1, v18
	;; [unrolled: 1-line block ×16, first 2 shown]
	v_fmac_f32_e32 v30, v0, v18
	v_fma_f32 v0, v0, v19, -v1
	v_fmac_f32_e32 v45, v2, v31
	v_fma_f32 v1, v2, v32, -v3
	;; [unrolled: 2-line block ×6, first 2 shown]
	v_fma_f32 v7, v40, v10, -v11
	v_fmac_f32_e32 v51, v43, v14
	v_fma_f32 v5, v44, v14, -v15
	v_fmac_f32_e32 v49, v39, v10
	v_add_f32_e32 v12, v45, v50
	v_add_f32_e32 v13, v1, v6
	v_add_f32_e32 v15, v2, v7
	v_sub_f32_e32 v2, v2, v7
	v_sub_f32_e32 v7, v47, v48
	;; [unrolled: 1-line block ×3, first 2 shown]
	v_add_f32_e32 v10, v30, v51
	v_sub_f32_e32 v18, v30, v51
	v_add_f32_e32 v30, v47, v48
	v_add_f32_e32 v31, v3, v4
	;; [unrolled: 1-line block ×3, first 2 shown]
	v_sub_f32_e32 v0, v0, v5
	v_add_f32_e32 v14, v46, v49
	v_sub_f32_e32 v5, v45, v50
	v_sub_f32_e32 v1, v1, v6
	v_sub_f32_e32 v6, v46, v49
	v_mul_f32_e32 v44, 0x3f7c1c5c, v7
	v_mul_f32_e32 v45, 0x3f7c1c5c, v19
	v_fmamk_f32 v46, v12, 0x3f441b7d, v16
	v_fmamk_f32 v49, v13, 0x3f441b7d, v17
	v_mul_f32_e32 v36, 0xbf248dbb, v7
	v_mul_f32_e32 v37, 0xbf248dbb, v19
	v_fmamk_f32 v38, v30, 0x3f441b7d, v16
	v_fmamk_f32 v39, v31, 0x3f441b7d, v17
	;; [unrolled: 4-line block ×3, first 2 shown]
	v_add_f32_e32 v42, v12, v10
	v_add_f32_e32 v43, v13, v11
	v_fma_f32 v44, 0xbf248dbb, v5, -v44
	v_fma_f32 v45, 0xbf248dbb, v1, -v45
	v_fmac_f32_e32 v46, 0x3e31d0d4, v30
	v_fmac_f32_e32 v49, 0x3e31d0d4, v31
	;; [unrolled: 1-line block ×10, first 2 shown]
	v_add_f32_e32 v50, v30, v42
	v_add_f32_e32 v51, v31, v43
	;; [unrolled: 1-line block ×4, first 2 shown]
	v_fmac_f32_e32 v44, 0x3f5db3d7, v6
	v_fmac_f32_e32 v45, 0x3f5db3d7, v2
	v_fmac_f32_e32 v46, -0.5, v14
	v_fmac_f32_e32 v49, -0.5, v15
	v_add_f32_e32 v40, v7, v18
	v_add_f32_e32 v41, v19, v0
	;; [unrolled: 1-line block ×4, first 2 shown]
	v_fmac_f32_e32 v36, 0xbf5db3d7, v6
	v_fmac_f32_e32 v37, 0xbf5db3d7, v2
	v_fmac_f32_e32 v38, -0.5, v14
	v_fmac_f32_e32 v39, -0.5, v15
	v_fmac_f32_e32 v32, 0x3f5db3d7, v6
	v_fmac_f32_e32 v33, 0x3f5db3d7, v2
	v_fmac_f32_e32 v34, -0.5, v14
	v_fmac_f32_e32 v35, -0.5, v15
	v_add_f32_e32 v2, v47, v42
	v_add_f32_e32 v3, v3, v43
	v_fmac_f32_e32 v44, 0x3eaf1d44, v18
	v_fmac_f32_e32 v45, 0x3eaf1d44, v0
	;; [unrolled: 1-line block ×4, first 2 shown]
	v_sub_f32_e32 v40, v40, v5
	v_sub_f32_e32 v41, v41, v1
	v_fmac_f32_e32 v8, -0.5, v50
	v_fmac_f32_e32 v9, -0.5, v51
	v_fmac_f32_e32 v36, 0x3eaf1d44, v5
	v_fmac_f32_e32 v37, 0x3eaf1d44, v1
	;; [unrolled: 1-line block ×8, first 2 shown]
	v_add_f32_e32 v0, v48, v2
	v_add_f32_e32 v1, v4, v3
	v_sub_f32_e32 v18, v46, v45
	v_add_f32_e32 v19, v44, v49
	v_mul_f32_e32 v52, 0x3f5db3d7, v40
	v_mul_f32_e32 v53, 0x3f5db3d7, v41
	v_fmac_f32_e32 v8, 0xbf5db3d7, v41
	v_fmac_f32_e32 v9, 0x3f5db3d7, v40
	v_sub_f32_e32 v12, v38, v37
	v_add_f32_e32 v13, v36, v39
	v_sub_f32_e32 v10, v34, v33
	v_add_f32_e32 v11, v32, v35
	v_add_f32_e32 v14, v16, v0
	;; [unrolled: 1-line block ×3, first 2 shown]
	v_fma_f32 v0, 2.0, v45, v18
	v_fma_f32 v1, -2.0, v44, v19
	v_fma_f32 v2, 2.0, v53, v8
	v_fma_f32 v3, -2.0, v52, v9
	;; [unrolled: 2-line block ×4, first 2 shown]
	ds_write2_b64 v28, v[14:15], v[10:11] offset1:11
	ds_write2_b64 v28, v[12:13], v[8:9] offset0:22 offset1:33
	ds_write2_b64 v28, v[18:19], v[0:1] offset0:44 offset1:55
	;; [unrolled: 1-line block ×3, first 2 shown]
	ds_write_b64 v28, v[6:7] offset:704
	s_waitcnt lgkmcnt(0)
	s_barrier
	buffer_gl0_inv
	ds_read2_b64 v[8:11], v29 offset1:99
	ds_read2_b64 v[12:15], v27 offset0:70 offset1:169
	ds_read_b64 v[18:19], v29 offset:3168
	s_and_saveexec_b32 s1, s0
	s_cbranch_execz .LBB0_17
; %bb.16:
	ds_read2_b64 v[0:3], v29 offset0:55 offset1:154
	ds_read2_b64 v[4:7], v27 offset0:125 offset1:224
	ds_read_b64 v[25:26], v29 offset:3608
.LBB0_17:
	s_or_b32 exec_lo, exec_lo, s1
	v_lshlrev_b32_e32 v16, 2, v24
	v_mov_b32_e32 v17, 0
	v_lshlrev_b64 v[30:31], 3, v[16:17]
	v_add_co_u32 v34, s1, s12, v30
	v_add_co_ci_u32_e64 v35, s1, s13, v31, s1
	s_clause 0x1
	global_load_dwordx4 v[30:33], v[34:35], off offset:704
	global_load_dwordx4 v[34:37], v[34:35], off offset:720
	s_waitcnt vmcnt(0) lgkmcnt(0)
	s_barrier
	buffer_gl0_inv
	v_mul_f32_e32 v16, v31, v11
	v_mul_f32_e32 v28, v31, v10
	;; [unrolled: 1-line block ×8, first 2 shown]
	v_fmac_f32_e32 v16, v30, v10
	v_fma_f32 v10, v30, v11, -v28
	v_fmac_f32_e32 v31, v32, v12
	v_fma_f32 v11, v32, v13, -v33
	;; [unrolled: 2-line block ×4, first 2 shown]
	v_add_f32_e32 v12, v8, v16
	v_add_f32_e32 v14, v31, v38
	v_sub_f32_e32 v15, v16, v31
	v_sub_f32_e32 v18, v39, v38
	v_add_f32_e32 v35, v9, v10
	v_add_f32_e32 v36, v11, v13
	;; [unrolled: 1-line block ×4, first 2 shown]
	v_sub_f32_e32 v28, v10, v19
	v_sub_f32_e32 v30, v11, v13
	;; [unrolled: 1-line block ×7, first 2 shown]
	v_add_f32_e32 v12, v12, v31
	v_fma_f32 v10, -0.5, v14, v8
	v_add_f32_e32 v31, v15, v18
	v_add_f32_e32 v15, v35, v11
	v_fma_f32 v11, -0.5, v36, v9
	v_fma_f32 v8, -0.5, v32, v8
	;; [unrolled: 1-line block ×3, first 2 shown]
	v_sub_f32_e32 v34, v38, v39
	v_sub_f32_e32 v41, v19, v13
	v_sub_f32_e32 v44, v13, v19
	v_add_f32_e32 v18, v12, v38
	v_fmamk_f32 v12, v28, 0xbf737871, v10
	v_add_f32_e32 v35, v15, v13
	v_fmamk_f32 v13, v16, 0x3f737871, v11
	v_fmamk_f32 v14, v30, 0x3f737871, v8
	v_fmac_f32_e32 v8, 0xbf737871, v30
	v_fmamk_f32 v15, v37, 0xbf737871, v9
	v_fmac_f32_e32 v9, 0x3f737871, v37
	v_fmac_f32_e32 v10, 0x3f737871, v28
	v_fmac_f32_e32 v11, 0xbf737871, v16
	v_add_f32_e32 v32, v33, v34
	v_add_f32_e32 v33, v40, v41
	v_fmac_f32_e32 v12, 0xbf167918, v30
	v_fmac_f32_e32 v13, 0x3f167918, v37
	v_add_f32_e32 v34, v43, v44
	v_fmac_f32_e32 v14, 0xbf167918, v28
	v_fmac_f32_e32 v8, 0x3f167918, v28
	;; [unrolled: 1-line block ×6, first 2 shown]
	v_add_f32_e32 v18, v18, v39
	v_add_f32_e32 v19, v35, v19
	v_fmac_f32_e32 v12, 0x3e9e377a, v31
	v_fmac_f32_e32 v13, 0x3e9e377a, v33
	;; [unrolled: 1-line block ×8, first 2 shown]
	ds_write2_b64 v29, v[18:19], v[12:13] offset1:99
	ds_write2_b64 v27, v[14:15], v[8:9] offset0:70 offset1:169
	ds_write_b64 v29, v[10:11] offset:3168
	s_and_saveexec_b32 s1, s0
	s_cbranch_execz .LBB0_19
; %bb.18:
	v_cndmask_b32_e64 v8, 0xffffffd4, 55, s0
	v_add_lshl_u32 v16, v24, v8, 2
	v_lshlrev_b64 v[8:9], 3, v[16:17]
	v_add_nc_u32_e32 v16, 0x400, v29
	v_add_co_u32 v12, s0, s12, v8
	v_add_co_ci_u32_e64 v13, s0, s13, v9, s0
	s_clause 0x1
	global_load_dwordx4 v[8:11], v[12:13], off offset:720
	global_load_dwordx4 v[12:15], v[12:13], off offset:704
	s_waitcnt vmcnt(1)
	v_mul_f32_e32 v17, v25, v11
	v_mul_f32_e32 v18, v6, v9
	s_waitcnt vmcnt(0)
	v_mul_f32_e32 v19, v4, v15
	v_mul_f32_e32 v27, v2, v13
	;; [unrolled: 1-line block ×6, first 2 shown]
	v_fma_f32 v17, v26, v10, -v17
	v_fma_f32 v7, v7, v8, -v18
	;; [unrolled: 1-line block ×4, first 2 shown]
	v_fmac_f32_e32 v13, v2, v12
	v_fmac_f32_e32 v15, v4, v14
	;; [unrolled: 1-line block ×4, first 2 shown]
	v_add_f32_e32 v2, v1, v3
	v_add_f32_e32 v12, v3, v17
	;; [unrolled: 1-line block ×6, first 2 shown]
	v_sub_f32_e32 v6, v5, v3
	v_sub_f32_e32 v8, v7, v17
	;; [unrolled: 1-line block ×6, first 2 shown]
	v_add_f32_e32 v5, v2, v5
	v_fma_f32 v3, -0.5, v12, v1
	v_fmac_f32_e32 v1, -0.5, v25
	v_fma_f32 v2, -0.5, v30, v0
	v_fmac_f32_e32 v0, -0.5, v33
	v_sub_f32_e32 v10, v15, v9
	v_sub_f32_e32 v19, v17, v7
	v_add_f32_e32 v4, v4, v15
	v_sub_f32_e32 v26, v15, v13
	v_sub_f32_e32 v13, v13, v15
	;; [unrolled: 1-line block ×3, first 2 shown]
	v_add_f32_e32 v15, v6, v8
	v_add_f32_e32 v8, v5, v7
	v_fmamk_f32 v7, v14, 0xbf737871, v1
	v_fmac_f32_e32 v1, 0x3f737871, v14
	v_fmamk_f32 v6, v28, 0x3f737871, v0
	v_fmac_f32_e32 v0, 0xbf737871, v28
	v_sub_f32_e32 v27, v9, v11
	v_add_f32_e32 v12, v18, v19
	v_add_f32_e32 v19, v4, v9
	v_fmamk_f32 v5, v10, 0x3f737871, v3
	v_fmac_f32_e32 v3, 0xbf737871, v10
	v_fmamk_f32 v4, v31, 0xbf737871, v2
	v_fmac_f32_e32 v2, 0x3f737871, v31
	v_add_f32_e32 v13, v13, v32
	v_fmac_f32_e32 v1, 0x3f167918, v10
	v_fmac_f32_e32 v0, 0xbf167918, v31
	v_add_f32_e32 v18, v26, v27
	v_fmac_f32_e32 v5, 0xbf167918, v14
	v_fmac_f32_e32 v3, 0x3f167918, v14
	;; [unrolled: 1-line block ×6, first 2 shown]
	v_add_f32_e32 v9, v8, v17
	v_add_f32_e32 v8, v19, v11
	v_fmac_f32_e32 v1, 0x3e9e377a, v12
	v_fmac_f32_e32 v0, 0x3e9e377a, v13
	;; [unrolled: 1-line block ×8, first 2 shown]
	ds_write2_b64 v29, v[8:9], v[0:1] offset0:55 offset1:154
	ds_write2_b64 v16, v[2:3], v[4:5] offset0:125 offset1:224
	ds_write_b64 v29, v[6:7] offset:3608
.LBB0_19:
	s_or_b32 exec_lo, exec_lo, s1
	s_waitcnt lgkmcnt(0)
	s_barrier
	buffer_gl0_inv
	s_and_saveexec_b32 s0, vcc_lo
	s_cbranch_execz .LBB0_21
; %bb.20:
	v_mul_lo_u32 v2, s3, v22
	v_mul_lo_u32 v3, s2, v23
	v_mad_u64_u32 v[0:1], null, s2, v22, 0
	v_lshl_add_u32 v18, v24, 3, 0
	v_mov_b32_e32 v25, 0
	v_lshlrev_b64 v[4:5], 3, v[20:21]
	v_add_nc_u32_e32 v6, 55, v24
	v_add_nc_u32_e32 v9, 0x6e, v24
	v_add_nc_u32_e32 v11, 0xa5, v24
	v_add3_u32 v1, v1, v3, v2
	v_lshlrev_b64 v[12:13], 3, v[24:25]
	v_lshlrev_b64 v[7:8], 3, v[0:1]
	ds_read2_b64 v[0:3], v18 offset1:55
	v_add_co_u32 v10, vcc_lo, s10, v7
	v_add_co_ci_u32_e32 v8, vcc_lo, s11, v8, vcc_lo
	v_mov_b32_e32 v7, v25
	v_add_co_u32 v20, vcc_lo, v10, v4
	v_add_co_ci_u32_e32 v21, vcc_lo, v8, v5, vcc_lo
	v_mov_b32_e32 v10, v25
	v_lshlrev_b64 v[16:17], 3, v[6:7]
	ds_read2_b64 v[4:7], v18 offset0:110 offset1:165
	v_add_co_u32 v14, vcc_lo, v20, v12
	v_add_co_ci_u32_e32 v15, vcc_lo, v21, v13, vcc_lo
	v_mov_b32_e32 v12, v25
	v_lshlrev_b64 v[8:9], 3, v[9:10]
	v_mov_b32_e32 v13, v25
	s_waitcnt lgkmcnt(1)
	global_store_dwordx2 v[14:15], v[0:1], off
	v_add_co_u32 v0, vcc_lo, v20, v16
	v_lshlrev_b64 v[10:11], 3, v[11:12]
	v_add_co_ci_u32_e32 v1, vcc_lo, v21, v17, vcc_lo
	v_add_co_u32 v8, vcc_lo, v20, v8
	v_add_co_ci_u32_e32 v9, vcc_lo, v21, v9, vcc_lo
	v_add_co_u32 v10, vcc_lo, v20, v10
	v_add_nc_u32_e32 v12, 0xdc, v24
	v_add_co_ci_u32_e32 v11, vcc_lo, v21, v11, vcc_lo
	v_add_nc_u32_e32 v14, 0x400, v18
	global_store_dwordx2 v[0:1], v[2:3], off
	s_waitcnt lgkmcnt(0)
	global_store_dwordx2 v[8:9], v[4:5], off
	global_store_dwordx2 v[10:11], v[6:7], off
	v_lshlrev_b64 v[4:5], 3, v[12:13]
	v_add_nc_u32_e32 v6, 0x113, v24
	v_mov_b32_e32 v7, v25
	ds_read2_b64 v[0:3], v14 offset0:92 offset1:147
	v_add_nc_u32_e32 v14, 0x800, v18
	v_add_nc_u32_e32 v8, 0x14a, v24
	v_mov_b32_e32 v9, v25
	v_add_co_u32 v10, vcc_lo, v20, v4
	v_add_co_ci_u32_e32 v11, vcc_lo, v21, v5, vcc_lo
	v_lshlrev_b64 v[12:13], 3, v[6:7]
	ds_read2_b64 v[4:7], v14 offset0:74 offset1:129
	v_add_nc_u32_e32 v14, 0x181, v24
	v_mov_b32_e32 v15, v25
	ds_read_b64 v[16:17], v18 offset:3520
	v_lshlrev_b64 v[8:9], 3, v[8:9]
	v_add_nc_u32_e32 v24, 0x1b8, v24
	v_add_co_u32 v12, vcc_lo, v20, v12
	v_lshlrev_b64 v[14:15], 3, v[14:15]
	v_add_co_ci_u32_e32 v13, vcc_lo, v21, v13, vcc_lo
	v_add_co_u32 v8, vcc_lo, v20, v8
	v_lshlrev_b64 v[18:19], 3, v[24:25]
	v_add_co_ci_u32_e32 v9, vcc_lo, v21, v9, vcc_lo
	v_add_co_u32 v14, vcc_lo, v20, v14
	v_add_co_ci_u32_e32 v15, vcc_lo, v21, v15, vcc_lo
	v_add_co_u32 v18, vcc_lo, v20, v18
	v_add_co_ci_u32_e32 v19, vcc_lo, v21, v19, vcc_lo
	s_waitcnt lgkmcnt(2)
	global_store_dwordx2 v[10:11], v[0:1], off
	global_store_dwordx2 v[12:13], v[2:3], off
	s_waitcnt lgkmcnt(1)
	global_store_dwordx2 v[8:9], v[4:5], off
	global_store_dwordx2 v[14:15], v[6:7], off
	s_waitcnt lgkmcnt(0)
	global_store_dwordx2 v[18:19], v[16:17], off
.LBB0_21:
	s_endpgm
	.section	.rodata,"a",@progbits
	.p2align	6, 0x0
	.amdhsa_kernel fft_rtc_back_len495_factors_11_9_5_wgs_55_tpt_55_sp_op_CI_CI_unitstride_sbrr_dirReg
		.amdhsa_group_segment_fixed_size 0
		.amdhsa_private_segment_fixed_size 0
		.amdhsa_kernarg_size 104
		.amdhsa_user_sgpr_count 6
		.amdhsa_user_sgpr_private_segment_buffer 1
		.amdhsa_user_sgpr_dispatch_ptr 0
		.amdhsa_user_sgpr_queue_ptr 0
		.amdhsa_user_sgpr_kernarg_segment_ptr 1
		.amdhsa_user_sgpr_dispatch_id 0
		.amdhsa_user_sgpr_flat_scratch_init 0
		.amdhsa_user_sgpr_private_segment_size 0
		.amdhsa_wavefront_size32 1
		.amdhsa_uses_dynamic_stack 0
		.amdhsa_system_sgpr_private_segment_wavefront_offset 0
		.amdhsa_system_sgpr_workgroup_id_x 1
		.amdhsa_system_sgpr_workgroup_id_y 0
		.amdhsa_system_sgpr_workgroup_id_z 0
		.amdhsa_system_sgpr_workgroup_info 0
		.amdhsa_system_vgpr_workitem_id 0
		.amdhsa_next_free_vgpr 83
		.amdhsa_next_free_sgpr 27
		.amdhsa_reserve_vcc 1
		.amdhsa_reserve_flat_scratch 0
		.amdhsa_float_round_mode_32 0
		.amdhsa_float_round_mode_16_64 0
		.amdhsa_float_denorm_mode_32 3
		.amdhsa_float_denorm_mode_16_64 3
		.amdhsa_dx10_clamp 1
		.amdhsa_ieee_mode 1
		.amdhsa_fp16_overflow 0
		.amdhsa_workgroup_processor_mode 1
		.amdhsa_memory_ordered 1
		.amdhsa_forward_progress 0
		.amdhsa_shared_vgpr_count 0
		.amdhsa_exception_fp_ieee_invalid_op 0
		.amdhsa_exception_fp_denorm_src 0
		.amdhsa_exception_fp_ieee_div_zero 0
		.amdhsa_exception_fp_ieee_overflow 0
		.amdhsa_exception_fp_ieee_underflow 0
		.amdhsa_exception_fp_ieee_inexact 0
		.amdhsa_exception_int_div_zero 0
	.end_amdhsa_kernel
	.text
.Lfunc_end0:
	.size	fft_rtc_back_len495_factors_11_9_5_wgs_55_tpt_55_sp_op_CI_CI_unitstride_sbrr_dirReg, .Lfunc_end0-fft_rtc_back_len495_factors_11_9_5_wgs_55_tpt_55_sp_op_CI_CI_unitstride_sbrr_dirReg
                                        ; -- End function
	.section	.AMDGPU.csdata,"",@progbits
; Kernel info:
; codeLenInByte = 6296
; NumSgprs: 29
; NumVgprs: 83
; ScratchSize: 0
; MemoryBound: 0
; FloatMode: 240
; IeeeMode: 1
; LDSByteSize: 0 bytes/workgroup (compile time only)
; SGPRBlocks: 3
; VGPRBlocks: 10
; NumSGPRsForWavesPerEU: 29
; NumVGPRsForWavesPerEU: 83
; Occupancy: 10
; WaveLimiterHint : 1
; COMPUTE_PGM_RSRC2:SCRATCH_EN: 0
; COMPUTE_PGM_RSRC2:USER_SGPR: 6
; COMPUTE_PGM_RSRC2:TRAP_HANDLER: 0
; COMPUTE_PGM_RSRC2:TGID_X_EN: 1
; COMPUTE_PGM_RSRC2:TGID_Y_EN: 0
; COMPUTE_PGM_RSRC2:TGID_Z_EN: 0
; COMPUTE_PGM_RSRC2:TIDIG_COMP_CNT: 0
	.text
	.p2alignl 6, 3214868480
	.fill 48, 4, 3214868480
	.type	__hip_cuid_1e6dd98607735ac,@object ; @__hip_cuid_1e6dd98607735ac
	.section	.bss,"aw",@nobits
	.globl	__hip_cuid_1e6dd98607735ac
__hip_cuid_1e6dd98607735ac:
	.byte	0                               ; 0x0
	.size	__hip_cuid_1e6dd98607735ac, 1

	.ident	"AMD clang version 19.0.0git (https://github.com/RadeonOpenCompute/llvm-project roc-6.4.0 25133 c7fe45cf4b819c5991fe208aaa96edf142730f1d)"
	.section	".note.GNU-stack","",@progbits
	.addrsig
	.addrsig_sym __hip_cuid_1e6dd98607735ac
	.amdgpu_metadata
---
amdhsa.kernels:
  - .args:
      - .actual_access:  read_only
        .address_space:  global
        .offset:         0
        .size:           8
        .value_kind:     global_buffer
      - .offset:         8
        .size:           8
        .value_kind:     by_value
      - .actual_access:  read_only
        .address_space:  global
        .offset:         16
        .size:           8
        .value_kind:     global_buffer
      - .actual_access:  read_only
        .address_space:  global
        .offset:         24
        .size:           8
        .value_kind:     global_buffer
      - .actual_access:  read_only
        .address_space:  global
        .offset:         32
        .size:           8
        .value_kind:     global_buffer
      - .offset:         40
        .size:           8
        .value_kind:     by_value
      - .actual_access:  read_only
        .address_space:  global
        .offset:         48
        .size:           8
        .value_kind:     global_buffer
      - .actual_access:  read_only
        .address_space:  global
        .offset:         56
        .size:           8
        .value_kind:     global_buffer
      - .offset:         64
        .size:           4
        .value_kind:     by_value
      - .actual_access:  read_only
        .address_space:  global
        .offset:         72
        .size:           8
        .value_kind:     global_buffer
      - .actual_access:  read_only
        .address_space:  global
        .offset:         80
        .size:           8
        .value_kind:     global_buffer
      - .actual_access:  read_only
        .address_space:  global
        .offset:         88
        .size:           8
        .value_kind:     global_buffer
      - .actual_access:  write_only
        .address_space:  global
        .offset:         96
        .size:           8
        .value_kind:     global_buffer
    .group_segment_fixed_size: 0
    .kernarg_segment_align: 8
    .kernarg_segment_size: 104
    .language:       OpenCL C
    .language_version:
      - 2
      - 0
    .max_flat_workgroup_size: 55
    .name:           fft_rtc_back_len495_factors_11_9_5_wgs_55_tpt_55_sp_op_CI_CI_unitstride_sbrr_dirReg
    .private_segment_fixed_size: 0
    .sgpr_count:     29
    .sgpr_spill_count: 0
    .symbol:         fft_rtc_back_len495_factors_11_9_5_wgs_55_tpt_55_sp_op_CI_CI_unitstride_sbrr_dirReg.kd
    .uniform_work_group_size: 1
    .uses_dynamic_stack: false
    .vgpr_count:     83
    .vgpr_spill_count: 0
    .wavefront_size: 32
    .workgroup_processor_mode: 1
amdhsa.target:   amdgcn-amd-amdhsa--gfx1030
amdhsa.version:
  - 1
  - 2
...

	.end_amdgpu_metadata
